;; amdgpu-corpus repo=ROCm/rocFFT kind=compiled arch=gfx950 opt=O3
	.text
	.amdgcn_target "amdgcn-amd-amdhsa--gfx950"
	.amdhsa_code_object_version 6
	.protected	bluestein_single_fwd_len98_dim1_sp_op_CI_CI ; -- Begin function bluestein_single_fwd_len98_dim1_sp_op_CI_CI
	.globl	bluestein_single_fwd_len98_dim1_sp_op_CI_CI
	.p2align	8
	.type	bluestein_single_fwd_len98_dim1_sp_op_CI_CI,@function
bluestein_single_fwd_len98_dim1_sp_op_CI_CI: ; @bluestein_single_fwd_len98_dim1_sp_op_CI_CI
; %bb.0:
	s_load_dwordx4 s[12:15], s[0:1], 0x28
	v_mul_u32_u24_e32 v1, 0x124a, v0
	v_lshrrev_b32_e32 v2, 16, v1
	v_mad_u64_u32 v[44:45], s[2:3], s2, 18, v[2:3]
	v_mov_b32_e32 v43, 0
	v_mov_b32_e32 v45, v43
	s_waitcnt lgkmcnt(0)
	v_cmp_gt_u64_e32 vcc, s[12:13], v[44:45]
	s_and_saveexec_b64 s[2:3], vcc
	s_cbranch_execz .LBB0_15
; %bb.1:
	s_load_dwordx4 s[4:7], s[0:1], 0x18
	s_load_dwordx2 s[12:13], s[0:1], 0x0
	v_mul_lo_u16_e32 v1, 14, v2
	v_sub_u16_e32 v42, v0, v1
	v_mov_b32_e32 v4, s14
	s_waitcnt lgkmcnt(0)
	s_load_dwordx4 s[8:11], s[4:5], 0x0
	v_mov_b32_e32 v5, s15
	v_cmp_gt_u16_e32 vcc, 7, v42
	s_waitcnt lgkmcnt(0)
	v_mad_u64_u32 v[0:1], s[2:3], s10, v44, 0
	v_mov_b32_e32 v2, v1
	v_mad_u64_u32 v[2:3], s[2:3], s11, v44, v[2:3]
	v_mov_b32_e32 v1, v2
	v_mad_u64_u32 v[2:3], s[2:3], s8, v42, 0
	v_mov_b32_e32 v6, v3
	v_mad_u64_u32 v[6:7], s[2:3], s9, v42, v[6:7]
	s_mul_i32 s2, s9, 49
	s_mul_hi_u32 s3, s8, 49
	s_mul_hi_u32 s5, s8, 0xffffffdd
	v_mov_b32_e32 v3, v6
	v_lshl_add_u64 v[0:1], v[0:1], 3, v[4:5]
	s_add_i32 s11, s3, s2
	s_mul_i32 s10, s8, 49
	s_mul_i32 s4, s9, 0xffffffdd
	s_sub_i32 s5, s5, s8
	v_lshl_add_u64 v[0:1], v[2:3], 3, v[0:1]
	v_lshlrev_b32_e32 v2, 3, v42
	s_lshl_b64 s[2:3], s[10:11], 3
	s_add_i32 s9, s5, s4
	s_mulk_i32 s8, 0xffdd
	v_lshl_add_u64 v[4:5], v[0:1], 0, s[2:3]
	global_load_dwordx2 v[6:7], v[0:1], off
	global_load_dwordx2 v[8:9], v[4:5], off
	global_load_dwordx2 v[54:55], v2, s[12:13] offset:392
	global_load_dwordx2 v[56:57], v2, s[12:13]
	s_lshl_b64 s[4:5], s[8:9], 3
	v_lshl_add_u64 v[0:1], v[4:5], 0, s[4:5]
	global_load_dwordx2 v[52:53], v2, s[12:13] offset:112
	global_load_dwordx2 v[4:5], v[0:1], off
	v_lshl_add_u64 v[0:1], v[0:1], 0, s[2:3]
	global_load_dwordx2 v[10:11], v[0:1], off
	global_load_dwordx2 v[50:51], v2, s[12:13] offset:504
	v_lshl_add_u64 v[0:1], v[0:1], 0, s[4:5]
	global_load_dwordx2 v[12:13], v[0:1], off
	global_load_dwordx2 v[48:49], v2, s[12:13] offset:224
	v_lshl_add_u64 v[0:1], v[0:1], 0, s[2:3]
	global_load_dwordx2 v[46:47], v2, s[12:13] offset:616
	global_load_dwordx2 v[14:15], v[0:1], off
	s_mov_b32 s4, 0x38e38e39
	v_mul_hi_u32 v16, v44, s4
	v_lshrrev_b32_e32 v16, 2, v16
	v_mul_lo_u32 v16, v16, 18
	v_sub_u32_e32 v16, v44, v16
	v_mul_u32_u24_e32 v16, 0x62, v16
	v_mov_b32_e32 v3, v43
	v_lshlrev_b32_e32 v16, 3, v16
	v_lshl_add_u64 v[40:41], s[12:13], 0, v[2:3]
	v_add_u32_e32 v45, v2, v16
	s_load_dwordx2 s[2:3], s[0:1], 0x38
	s_waitcnt vmcnt(8)
	v_mul_f32_e32 v2, v7, v57
	v_mul_f32_e32 v3, v6, v57
	s_load_dwordx4 s[4:7], s[6:7], 0x0
	v_fmac_f32_e32 v2, v6, v56
	v_fma_f32 v3, v7, v56, -v3
	v_mul_f32_e32 v6, v9, v55
	v_mul_f32_e32 v7, v8, v55
	v_fmac_f32_e32 v6, v8, v54
	v_fma_f32 v7, v9, v54, -v7
	s_waitcnt vmcnt(6)
	v_mul_f32_e32 v8, v5, v53
	v_mul_f32_e32 v9, v4, v53
	v_fmac_f32_e32 v8, v4, v52
	v_fma_f32 v9, v5, v52, -v9
	ds_write_b64 v45, v[6:7] offset:392
	s_waitcnt vmcnt(4)
	v_mul_f32_e32 v4, v11, v51
	v_mul_f32_e32 v5, v10, v51
	ds_write2_b64 v45, v[2:3], v[8:9] offset1:14
	s_waitcnt vmcnt(2)
	v_mul_f32_e32 v2, v13, v49
	v_mul_f32_e32 v3, v12, v49
	s_waitcnt vmcnt(0)
	v_mul_f32_e32 v6, v15, v47
	v_mul_f32_e32 v7, v14, v47
	v_fmac_f32_e32 v4, v10, v50
	v_fma_f32 v5, v11, v50, -v5
	v_fmac_f32_e32 v2, v12, v48
	v_fma_f32 v3, v13, v48, -v3
	;; [unrolled: 2-line block ×3, first 2 shown]
	ds_write_b64 v45, v[2:3] offset:224
	ds_write2_b64 v45, v[4:5], v[6:7] offset0:63 offset1:77
	s_and_saveexec_b64 s[14:15], vcc
	s_cbranch_execz .LBB0_3
; %bb.2:
	v_lshl_add_u64 v[0:1], s[8:9], 3, v[0:1]
	global_load_dwordx2 v[2:3], v[0:1], off
	global_load_dwordx2 v[4:5], v[40:41], off offset:336
	global_load_dwordx2 v[6:7], v[40:41], off offset:728
	v_lshl_add_u64 v[0:1], s[10:11], 3, v[0:1]
	global_load_dwordx2 v[0:1], v[0:1], off
	s_waitcnt vmcnt(2)
	v_mul_f32_e32 v8, v3, v5
	v_mul_f32_e32 v5, v2, v5
	v_fmac_f32_e32 v8, v2, v4
	v_fma_f32 v9, v3, v4, -v5
	s_waitcnt vmcnt(0)
	v_mul_f32_e32 v2, v1, v7
	v_mul_f32_e32 v3, v0, v7
	v_fmac_f32_e32 v2, v0, v6
	v_fma_f32 v3, v1, v6, -v3
	ds_write2_b64 v45, v[8:9], v[2:3] offset0:42 offset1:91
.LBB0_3:
	s_or_b64 exec, exec, s[14:15]
	s_waitcnt lgkmcnt(0)
	s_barrier
	ds_read2_b64 v[8:11], v45 offset1:14
	ds_read2_b64 v[4:7], v45 offset0:28 offset1:49
	ds_read2_b64 v[12:15], v45 offset0:63 offset1:77
	s_load_dwordx2 s[8:9], s[0:1], 0x8
                                        ; implicit-def: $vgpr0
	s_and_saveexec_b64 s[0:1], vcc
	s_cbranch_execz .LBB0_5
; %bb.4:
	ds_read2_b64 v[0:3], v45 offset0:42 offset1:91
.LBB0_5:
	s_or_b64 exec, exec, s[0:1]
	v_lshl_add_u64 v[22:23], v[42:43], 0, 42
	s_waitcnt lgkmcnt(0)
	v_pk_add_f32 v[20:21], v[8:9], v[6:7] neg_lo:[0,1] neg_hi:[0,1]
	v_pk_add_f32 v[12:13], v[10:11], v[12:13] neg_lo:[0,1] neg_hi:[0,1]
	;; [unrolled: 1-line block ×3, first 2 shown]
	v_lshlrev_b16_e32 v14, 1, v42
	v_pk_add_f32 v[2:3], v[0:1], v[2:3] neg_lo:[0,1] neg_hi:[0,1]
	v_lshl_add_u32 v59, v14, 3, v16
	v_pk_fma_f32 v[18:19], v[8:9], 2.0, v[20:21] op_sel_hi:[1,0,1] neg_lo:[0,0,1] neg_hi:[0,0,1]
	v_lshl_add_u32 v60, v42, 4, v16
	v_pk_fma_f32 v[10:11], v[10:11], 2.0, v[12:13] op_sel_hi:[1,0,1] neg_lo:[0,0,1] neg_hi:[0,0,1]
	v_pk_fma_f32 v[4:5], v[4:5], 2.0, v[6:7] op_sel_hi:[1,0,1] neg_lo:[0,0,1] neg_hi:[0,0,1]
	v_lshl_add_u32 v58, v22, 4, v16
	s_barrier
	ds_write_b128 v59, v[18:21]
	ds_write_b128 v60, v[10:13] offset:224
	ds_write_b128 v60, v[4:7] offset:448
	s_and_saveexec_b64 s[0:1], vcc
	s_cbranch_execz .LBB0_7
; %bb.6:
	v_pk_fma_f32 v[0:1], v[0:1], 2.0, v[2:3] op_sel_hi:[1,0,1] neg_lo:[0,0,1] neg_hi:[0,0,1]
	ds_write_b128 v58, v[0:3]
.LBB0_7:
	s_or_b64 exec, exec, s[0:1]
	v_and_b32_e32 v17, 1, v42
	v_mul_u32_u24_e32 v0, 6, v17
	v_lshlrev_b32_e32 v0, 3, v0
	s_waitcnt lgkmcnt(0)
	s_barrier
	global_load_dwordx4 v[12:15], v0, s[8:9] offset:16
	global_load_dwordx4 v[8:11], v0, s[8:9]
	global_load_dwordx4 v[4:7], v0, s[8:9] offset:32
	ds_read2_b64 v[18:21], v45 offset0:28 offset1:42
	ds_read2_b64 v[22:25], v45 offset0:56 offset1:70
	ds_read2_b64 v[26:29], v45 offset1:14
	ds_read_b64 v[0:1], v45 offset:672
	v_lshrrev_b32_e32 v30, 1, v42
	v_mul_u32_u24_e32 v30, 14, v30
	v_or_b32_e32 v17, v30, v17
	v_lshl_add_u32 v43, v17, 3, v16
	s_waitcnt lgkmcnt(3)
	v_mov_b32_e32 v16, v19
	s_waitcnt lgkmcnt(2)
	v_mov_b32_e32 v17, v22
	v_mov_b32_e32 v30, v25
	;; [unrolled: 1-line block ×3, first 2 shown]
	s_mov_b32 s10, 0x3eae86e6
	s_mov_b32 s11, 0xbf08b237
	;; [unrolled: 1-line block ×12, first 2 shown]
	s_waitcnt lgkmcnt(0)
	s_barrier
	s_waitcnt vmcnt(2)
	v_mul_f32_e32 v33, v21, v12
	v_mul_f32_e32 v35, v20, v13
	;; [unrolled: 1-line block ×4, first 2 shown]
	s_waitcnt vmcnt(1)
	v_mul_f32_e32 v32, v19, v11
	s_waitcnt vmcnt(0)
	v_mul_f32_e32 v34, v25, v5
	v_mov_b32_e32 v19, v23
	v_mov_b32_e32 v22, v11
	;; [unrolled: 1-line block ×6, first 2 shown]
	v_pk_mul_f32 v[62:63], v[28:29], v[8:9] op_sel_hi:[1,0]
	v_mov_b32_e32 v64, v10
	v_mov_b32_e32 v65, v14
	v_mov_b32_e32 v66, v4
	v_mov_b32_e32 v67, v12
	v_pk_mul_f32 v[68:69], v[0:1], v[6:7] op_sel_hi:[1,0]
	v_mov_b32_e32 v36, v7
	v_fma_f32 v32, v18, v10, -v32
	v_pk_mul_f32 v[18:19], v[18:19], v[22:23]
	v_pk_mul_f32 v[20:21], v[24:25], v[20:21]
	v_fma_f32 v34, v24, v4, -v34
	v_pk_fma_f32 v[22:23], v[28:29], v[8:9], v[62:63] op_sel:[0,1,1] op_sel_hi:[1,1,0]
	v_pk_fma_f32 v[28:29], v[28:29], v[8:9], v[62:63] op_sel:[0,1,1] op_sel_hi:[1,1,0] neg_lo:[1,0,0] neg_hi:[1,0,0]
	v_pk_fma_f32 v[24:25], v[0:1], v[36:37], v[68:69] op_sel:[0,0,1] op_sel_hi:[1,0,0]
	v_pk_fma_f32 v[0:1], v[0:1], v[36:37], v[68:69] op_sel:[0,0,1] op_sel_hi:[1,0,0] neg_lo:[1,0,0] neg_hi:[1,0,0]
	v_pk_fma_f32 v[68:69], v[16:17], v[10:11], v[18:19]
	v_pk_fma_f32 v[16:17], v[16:17], v[64:65], v[18:19] neg_lo:[0,0,1] neg_hi:[0,0,1]
	v_pk_fma_f32 v[18:19], v[30:31], v[4:5], v[20:21]
	v_pk_fma_f32 v[20:21], v[30:31], v[66:67], v[20:21] neg_lo:[0,0,1] neg_hi:[0,0,1]
	v_mov_b32_e32 v23, v29
	v_mov_b32_e32 v25, v1
	v_mov_b32_e32 v36, v29
	v_mov_b32_e32 v38, v1
	v_mov_b32_e32 v69, v17
	v_mov_b32_e32 v19, v21
	v_pk_add_f32 v[62:63], v[32:33], v[34:35]
	v_mov_b32_e32 v1, v32
	v_pk_add_f32 v[30:31], v[22:23], v[24:25]
	v_pk_add_f32 v[22:23], v[22:23], v[24:25] neg_lo:[0,1] neg_hi:[0,1]
	v_pk_add_f32 v[24:25], v[36:37], v[38:39]
	v_pk_add_f32 v[32:33], v[68:69], v[18:19]
	v_mov_b32_e32 v29, v34
	v_mov_b32_e32 v28, v63
	;; [unrolled: 1-line block ×7, first 2 shown]
	v_pk_add_f32 v[38:39], v[62:63], v[24:25]
	v_pk_add_f32 v[0:1], v[0:1], v[28:29] neg_lo:[0,1] neg_hi:[0,1]
	v_pk_add_f32 v[16:17], v[16:17], v[20:21]
	v_pk_add_f32 v[18:19], v[68:69], v[18:19] neg_lo:[0,1] neg_hi:[0,1]
	v_mov_b32_e32 v37, v23
	v_mov_b32_e32 v65, v30
	;; [unrolled: 1-line block ×7, first 2 shown]
	v_pk_add_f32 v[36:37], v[36:37], v[18:19] neg_lo:[0,1] neg_hi:[0,1]
	v_pk_add_f32 v[64:65], v[64:65], v[62:63] neg_lo:[0,1] neg_hi:[0,1]
	v_mov_b32_e32 v25, v39
	v_mov_b32_e32 v66, v16
	;; [unrolled: 1-line block ×3, first 2 shown]
	v_pk_add_f32 v[16:17], v[38:39], v[16:17]
	v_pk_add_f32 v[28:29], v[34:35], v[0:1] neg_lo:[0,1] neg_hi:[0,1]
	v_pk_add_f32 v[34:35], v[18:19], v[0:1]
	v_pk_mul_f32 v[36:37], v[36:37], s[14:15]
	v_pk_add_f32 v[66:67], v[24:25], v[66:67] neg_lo:[0,1] neg_hi:[0,1]
	v_pk_add_f32 v[26:27], v[26:27], v[16:17]
	v_pk_mul_f32 v[38:39], v[64:65], s[24:25]
	v_pk_mul_f32 v[20:21], v[28:29], s[10:11]
	v_pk_add_f32 v[34:35], v[34:35], v[22:23]
	v_pk_mul_f32 v[64:65], v[66:67], s[18:19]
	v_pk_fma_f32 v[16:17], v[16:17], s[22:23], v[26:27] op_sel_hi:[1,0,1] neg_lo:[1,0,0] neg_hi:[1,0,0]
	v_pk_fma_f32 v[66:67], v[66:67], s[18:19], v[38:39]
	v_pk_fma_f32 v[28:29], v[28:29], s[10:11], v[36:37]
	v_mov_b32_e32 v19, v1
	v_mov_b32_e32 v63, v32
	;; [unrolled: 1-line block ×3, first 2 shown]
	v_pk_add_f32 v[66:67], v[66:67], v[16:17]
	v_pk_fma_f32 v[28:29], v[34:35], s[0:1], v[28:29] op_sel_hi:[1,0,1]
	v_pk_add_f32 v[0:1], v[18:19], v[22:23] neg_lo:[0,1] neg_hi:[0,1]
	v_pk_add_f32 v[18:19], v[62:63], v[24:25] neg_lo:[0,1] neg_hi:[0,1]
	v_mov_b32_e32 v22, v64
	v_mov_b32_e32 v23, v39
	;; [unrolled: 1-line block ×6, first 2 shown]
	v_pk_add_f32 v[68:69], v[66:67], v[28:29]
	v_pk_add_f32 v[28:29], v[66:67], v[28:29] neg_lo:[0,1] neg_hi:[0,1]
	v_pk_fma_f32 v[22:23], v[18:19], s[20:21], v[22:23] op_sel_hi:[1,0,1] neg_lo:[1,0,1] neg_hi:[1,0,1]
	v_pk_fma_f32 v[24:25], v[0:1], s[16:17], v[24:25] op_sel_hi:[1,0,1] neg_lo:[1,0,1] neg_hi:[1,0,1]
	v_pk_fma_f32 v[18:19], v[18:19], s[20:21], v[38:39] op_sel_hi:[1,0,1] neg_lo:[0,0,1] neg_hi:[0,0,1]
	v_pk_fma_f32 v[0:1], v[0:1], s[16:17], v[36:37] op_sel_hi:[1,0,1] neg_lo:[0,0,1] neg_hi:[0,0,1]
	v_mov_b32_e32 v66, v68
	v_mov_b32_e32 v67, v29
	v_pk_add_f32 v[22:23], v[22:23], v[16:17]
	v_pk_fma_f32 v[24:25], v[34:35], s[0:1], v[24:25] op_sel_hi:[1,0,1]
	v_pk_add_f32 v[16:17], v[18:19], v[16:17]
	v_pk_fma_f32 v[0:1], v[34:35], s[0:1], v[0:1] op_sel_hi:[1,0,1]
	ds_write2_b64 v43, v[26:27], v[66:67] offset1:2
	v_pk_add_f32 v[26:27], v[22:23], v[24:25]
	v_pk_add_f32 v[22:23], v[22:23], v[24:25] neg_lo:[0,1] neg_hi:[0,1]
	v_pk_add_f32 v[18:19], v[16:17], v[0:1] neg_lo:[0,1] neg_hi:[0,1]
	v_pk_add_f32 v[0:1], v[16:17], v[0:1]
	v_mov_b32_e32 v25, v23
	v_mov_b32_e32 v17, v1
	;; [unrolled: 1-line block ×6, first 2 shown]
	ds_write2_b64 v43, v[0:1], v[22:23] offset0:8 offset1:10
	v_mov_b32_e32 v29, v69
	v_mad_u64_u32 v[0:1], s[8:9], v42, 48, s[8:9]
	ds_write2_b64 v43, v[24:25], v[16:17] offset0:4 offset1:6
	ds_write_b64 v43, v[28:29] offset:96
	s_waitcnt lgkmcnt(0)
	s_barrier
	global_load_dwordx4 v[20:23], v[0:1], off offset:96
	global_load_dwordx4 v[24:27], v[0:1], off offset:112
	;; [unrolled: 1-line block ×3, first 2 shown]
	ds_read2_b64 v[28:31], v45 offset1:14
	ds_read2_b64 v[32:35], v45 offset0:28 offset1:42
	ds_read2_b64 v[36:39], v45 offset0:56 offset1:70
	ds_read_b64 v[0:1], v45 offset:672
	s_waitcnt lgkmcnt(3)
	v_mov_b32_e32 v64, v31
	s_waitcnt lgkmcnt(2)
	v_mov_b32_e32 v65, v34
	v_mov_b32_e32 v62, v30
	;; [unrolled: 1-line block ×3, first 2 shown]
	s_waitcnt lgkmcnt(0)
	v_mov_b32_e32 v66, v0
	v_mov_b32_e32 v67, v37
	s_waitcnt vmcnt(2)
	v_mov_b32_e32 v70, v21
	s_waitcnt vmcnt(1)
	v_mov_b32_e32 v71, v25
	v_mov_b32_e32 v68, v20
	;; [unrolled: 1-line block ×3, first 2 shown]
	v_pk_mul_f32 v[64:65], v[64:65], v[70:71]
	s_waitcnt vmcnt(0)
	v_mov_b32_e32 v72, v18
	v_pk_fma_f32 v[70:71], v[62:63], v[68:69], v[64:65] neg_lo:[0,0,1] neg_hi:[0,0,1]
	v_pk_fma_f32 v[62:63], v[62:63], v[68:69], v[64:65]
	v_mov_b32_e32 v64, v1
	v_mov_b32_e32 v65, v36
	;; [unrolled: 1-line block ×5, first 2 shown]
	v_pk_mul_f32 v[64:65], v[64:65], v[68:69]
	v_mov_b32_e32 v74, v24
	v_pk_fma_f32 v[68:69], v[66:67], v[72:73], v[64:65] neg_lo:[0,0,1] neg_hi:[0,0,1]
	v_pk_fma_f32 v[64:65], v[66:67], v[72:73], v[64:65]
	v_mov_b32_e32 v66, v35
	v_mov_b32_e32 v67, v32
	;; [unrolled: 1-line block ×4, first 2 shown]
	v_pk_mul_f32 v[66:67], v[66:67], v[72:73]
	v_mov_b32_e32 v72, v34
	v_mov_b32_e32 v73, v33
	;; [unrolled: 1-line block ×3, first 2 shown]
	v_pk_fma_f32 v[72:73], v[72:73], v[74:75], v[66:67]
	v_pk_fma_f32 v[34:35], v[34:35], v[24:25], v[66:67] neg_lo:[0,0,1] neg_hi:[0,0,1]
	v_mov_b32_e32 v66, v37
	v_mov_b32_e32 v67, v38
	;; [unrolled: 1-line block ×4, first 2 shown]
	v_mul_f32_e32 v33, v33, v23
	v_pk_mul_f32 v[66:67], v[66:67], v[74:75]
	v_mov_b32_e32 v74, v36
	v_mov_b32_e32 v75, v39
	;; [unrolled: 1-line block ×4, first 2 shown]
	v_fma_f32 v33, v32, v22, -v33
	v_pk_fma_f32 v[74:75], v[74:75], v[76:77], v[66:67]
	v_pk_fma_f32 v[36:37], v[36:37], v[26:27], v[66:67] neg_lo:[0,0,1] neg_hi:[0,0,1]
	v_mul_f32_e32 v32, v39, v17
	v_mul_f32_e32 v0, v0, v19
	;; [unrolled: 1-line block ×3, first 2 shown]
	v_fma_f32 v39, v38, v16, -v32
	v_fmac_f32_e32 v0, v1, v18
	v_fmac_f32_e32 v30, v31, v20
	v_mov_b32_e32 v31, v70
	v_mov_b32_e32 v1, v68
	;; [unrolled: 1-line block ×6, first 2 shown]
	v_add_f32_e32 v67, v30, v0
	v_pk_add_f32 v[30:31], v[30:31], v[0:1] neg_lo:[0,1] neg_hi:[0,1]
	v_add_f32_e32 v62, v33, v39
	v_pk_add_f32 v[32:33], v[32:33], v[38:39] neg_lo:[0,1] neg_hi:[0,1]
	v_pk_add_f32 v[38:39], v[34:35], v[36:37]
	v_mov_b32_e32 v0, v65
	v_mov_b32_e32 v1, v36
	;; [unrolled: 1-line block ×6, first 2 shown]
	v_pk_add_f32 v[0:1], v[0:1], v[36:37] neg_lo:[0,1] neg_hi:[0,1]
	v_pk_add_f32 v[68:69], v[70:71], v[68:69]
	v_mov_b32_e32 v64, v0
	v_mov_b32_e32 v65, v31
	;; [unrolled: 1-line block ×4, first 2 shown]
	v_pk_add_f32 v[36:37], v[0:1], v[32:33]
	v_pk_add_f32 v[64:65], v[64:65], v[70:71] neg_lo:[0,1] neg_hi:[0,1]
	v_mov_b32_e32 v70, v30
	v_mov_b32_e32 v1, v33
	v_add_f32_e32 v34, v62, v68
	v_pk_add_f32 v[70:71], v[70:71], v[0:1] neg_lo:[0,1] neg_hi:[0,1]
	v_add_f32_e32 v1, v39, v67
	v_mov_b32_e32 v66, v38
	v_mov_b32_e32 v63, v69
	;; [unrolled: 1-line block ×4, first 2 shown]
	v_pk_add_f32 v[0:1], v[34:35], v[0:1]
	v_pk_add_f32 v[34:35], v[66:67], v[62:63] neg_lo:[0,1] neg_hi:[0,1]
	v_pk_add_f32 v[28:29], v[28:29], v[0:1]
	v_pk_add_f32 v[72:73], v[68:69], v[38:39] neg_lo:[0,1] neg_hi:[0,1]
	v_pk_mul_f32 v[34:35], v[34:35], s[24:25]
	v_pk_mul_f32 v[64:65], v[64:65], s[14:15]
	v_pk_add_f32 v[36:37], v[36:37], v[30:31]
	v_pk_fma_f32 v[74:75], v[0:1], s[22:23], v[28:29] op_sel_hi:[1,0,1] neg_lo:[1,0,0] neg_hi:[1,0,0]
	v_pk_fma_f32 v[0:1], v[72:73], s[18:19], v[34:35]
	v_pk_fma_f32 v[76:77], v[70:71], s[10:11], v[64:65]
	v_pk_add_f32 v[0:1], v[0:1], v[74:75]
	v_pk_fma_f32 v[76:77], v[36:37], s[0:1], v[76:77] op_sel_hi:[1,0,1]
	v_pk_mul_f32 v[70:71], v[70:71], s[10:11]
	v_pk_add_f32 v[78:79], v[0:1], v[76:77] neg_lo:[0,1] neg_hi:[0,1]
	v_pk_add_f32 v[76:77], v[0:1], v[76:77]
	v_mov_b32_e32 v63, v39
	v_mov_b32_e32 v1, v77
	;; [unrolled: 1-line block ×3, first 2 shown]
	ds_write2_b64 v45, v[28:29], v[76:77] offset1:14
	v_pk_mul_f32 v[28:29], v[72:73], s[18:19]
	v_mov_b32_e32 v69, v67
	v_pk_add_f32 v[38:39], v[62:63], v[68:69] neg_lo:[0,1] neg_hi:[0,1]
	v_pk_add_f32 v[30:31], v[32:33], v[30:31] neg_lo:[0,1] neg_hi:[0,1]
	v_mov_b32_e32 v32, v34
	v_mov_b32_e32 v33, v29
	;; [unrolled: 1-line block ×6, first 2 shown]
	v_pk_fma_f32 v[32:33], v[38:39], s[20:21], v[32:33] op_sel_hi:[1,0,1] neg_lo:[0,0,1] neg_hi:[0,0,1]
	v_pk_fma_f32 v[62:63], v[30:31], s[16:17], v[62:63] op_sel_hi:[1,0,1] neg_lo:[0,0,1] neg_hi:[0,0,1]
	;; [unrolled: 1-line block ×4, first 2 shown]
	v_pk_add_f32 v[32:33], v[32:33], v[74:75]
	v_pk_fma_f32 v[62:63], v[36:37], s[0:1], v[62:63] op_sel_hi:[1,0,1]
	v_pk_add_f32 v[28:29], v[28:29], v[74:75]
	v_pk_fma_f32 v[30:31], v[36:37], s[0:1], v[30:31] op_sel_hi:[1,0,1]
	v_pk_add_f32 v[66:67], v[32:33], v[62:63] neg_lo:[0,1] neg_hi:[0,1]
	v_pk_add_f32 v[32:33], v[32:33], v[62:63]
	v_pk_add_f32 v[34:35], v[28:29], v[30:31] neg_lo:[0,1] neg_hi:[0,1]
	v_pk_add_f32 v[28:29], v[28:29], v[30:31]
	v_mov_b32_e32 v31, v35
	v_mov_b32_e32 v30, v28
	;; [unrolled: 1-line block ×7, first 2 shown]
	ds_write2_b64 v45, v[30:31], v[36:37] offset0:28 offset1:42
	ds_write2_b64 v45, v[32:33], v[34:35] offset0:56 offset1:70
	ds_write_b64 v45, v[0:1] offset:672
	s_waitcnt lgkmcnt(0)
	s_barrier
	global_load_dwordx2 v[38:39], v[40:41], off offset:784
	s_add_u32 s0, s12, 0x310
	s_addc_u32 s1, s13, 0
	v_lshlrev_b32_e32 v28, 3, v42
	global_load_dwordx2 v[62:63], v28, s[0:1] offset:392
	global_load_dwordx2 v[64:65], v28, s[0:1] offset:112
	;; [unrolled: 1-line block ×5, first 2 shown]
	ds_read2_b64 v[30:33], v45 offset1:14
	ds_read2_b64 v[34:37], v45 offset0:28 offset1:49
	s_waitcnt vmcnt(5) lgkmcnt(1)
	v_mul_f32_e32 v29, v31, v39
	v_fma_f32 v72, v30, v38, -v29
	v_mul_f32_e32 v73, v30, v39
	s_waitcnt vmcnt(3)
	v_mul_f32_e32 v30, v33, v65
	v_mul_f32_e32 v39, v32, v65
	v_fmac_f32_e32 v73, v31, v38
	v_fma_f32 v38, v32, v64, -v30
	v_fmac_f32_e32 v39, v33, v64
	ds_read2_b64 v[30:33], v45 offset0:63 offset1:77
	s_waitcnt lgkmcnt(1)
	v_mul_f32_e32 v29, v37, v63
	v_mul_f32_e32 v65, v36, v63
	v_fma_f32 v64, v36, v62, -v29
	v_fmac_f32_e32 v65, v37, v62
	s_waitcnt vmcnt(2) lgkmcnt(0)
	v_mul_f32_e32 v29, v31, v67
	v_mul_f32_e32 v37, v30, v67
	v_fma_f32 v36, v30, v66, -v29
	v_fmac_f32_e32 v37, v31, v66
	s_waitcnt vmcnt(1)
	v_mul_f32_e32 v29, v35, v69
	v_mul_f32_e32 v31, v34, v69
	v_fma_f32 v30, v34, v68, -v29
	v_fmac_f32_e32 v31, v35, v68
	ds_write2_b64 v45, v[30:31], v[64:65] offset0:28 offset1:49
	s_waitcnt vmcnt(0)
	v_mul_f32_e32 v29, v33, v71
	v_mul_f32_e32 v31, v32, v71
	v_fma_f32 v30, v32, v70, -v29
	v_fmac_f32_e32 v31, v33, v70
	ds_write2_b64 v45, v[72:73], v[38:39] offset1:14
	ds_write2_b64 v45, v[36:37], v[30:31] offset0:63 offset1:77
	s_and_saveexec_b64 s[8:9], vcc
	s_cbranch_execz .LBB0_9
; %bb.8:
	v_mov_b32_e32 v29, 0
	v_lshl_add_u64 v[28:29], s[0:1], 0, v[28:29]
	global_load_dwordx2 v[32:33], v[28:29], off offset:336
	global_load_dwordx2 v[34:35], v[28:29], off offset:728
	ds_read2_b64 v[28:31], v45 offset0:42 offset1:91
	s_waitcnt vmcnt(1) lgkmcnt(0)
	v_mul_f32_e32 v36, v29, v33
	v_mul_f32_e32 v37, v28, v33
	s_waitcnt vmcnt(0)
	v_mul_f32_e32 v38, v31, v35
	v_mul_f32_e32 v33, v30, v35
	v_fma_f32 v36, v28, v32, -v36
	v_fmac_f32_e32 v37, v29, v32
	v_fma_f32 v32, v30, v34, -v38
	v_fmac_f32_e32 v33, v31, v34
	ds_write2_b64 v45, v[36:37], v[32:33] offset0:42 offset1:91
.LBB0_9:
	s_or_b64 exec, exec, s[8:9]
	s_waitcnt lgkmcnt(0)
	s_barrier
	ds_read2_b64 v[32:35], v45 offset1:14
	ds_read2_b64 v[28:31], v45 offset0:28 offset1:49
	ds_read2_b64 v[36:39], v45 offset0:63 offset1:77
	v_add_u32_e32 v61, 0xe0, v60
	v_add_u32_e32 v60, 0x1c0, v60
	s_and_saveexec_b64 s[0:1], vcc
	s_cbranch_execz .LBB0_11
; %bb.10:
	ds_read2_b64 v[0:3], v45 offset0:42 offset1:91
.LBB0_11:
	s_or_b64 exec, exec, s[0:1]
	s_waitcnt lgkmcnt(1)
	v_pk_add_f32 v[64:65], v[32:33], v[30:31] neg_lo:[0,1] neg_hi:[0,1]
	s_waitcnt lgkmcnt(0)
	v_pk_add_f32 v[36:37], v[34:35], v[36:37] neg_lo:[0,1] neg_hi:[0,1]
	v_pk_add_f32 v[30:31], v[28:29], v[38:39] neg_lo:[0,1] neg_hi:[0,1]
	v_pk_fma_f32 v[62:63], v[32:33], 2.0, v[64:65] op_sel_hi:[1,0,1] neg_lo:[0,0,1] neg_hi:[0,0,1]
	v_pk_fma_f32 v[34:35], v[34:35], 2.0, v[36:37] op_sel_hi:[1,0,1] neg_lo:[0,0,1] neg_hi:[0,0,1]
	;; [unrolled: 1-line block ×3, first 2 shown]
	s_barrier
	ds_write_b128 v59, v[62:65]
	ds_write_b128 v61, v[34:37]
	;; [unrolled: 1-line block ×3, first 2 shown]
	s_and_saveexec_b64 s[0:1], vcc
	s_cbranch_execz .LBB0_13
; %bb.12:
	v_pk_add_f32 v[2:3], v[0:1], v[2:3] neg_lo:[0,1] neg_hi:[0,1]
	s_nop 0
	v_pk_fma_f32 v[0:1], v[0:1], 2.0, v[2:3] op_sel_hi:[1,0,1] neg_lo:[0,0,1] neg_hi:[0,0,1]
	ds_write_b128 v58, v[0:3]
.LBB0_13:
	s_or_b64 exec, exec, s[0:1]
	s_waitcnt lgkmcnt(0)
	s_barrier
	ds_read2_b64 v[28:31], v45 offset0:28 offset1:42
	ds_read2_b64 v[32:35], v45 offset1:14
	ds_read2_b64 v[36:39], v45 offset0:56 offset1:70
	ds_read_b64 v[2:3], v45 offset:672
	v_mov_b32_e32 v60, v13
	s_mov_b32 s10, 0x3f08b237
	s_mov_b32 s16, 0x3d64c772
	s_waitcnt lgkmcnt(3)
	v_pk_mul_f32 v[62:63], v[12:13], v[30:31] op_sel:[0,1] op_sel_hi:[1,0]
	s_waitcnt lgkmcnt(1)
	v_pk_mul_f32 v[64:65], v[14:15], v[36:37] op_sel:[0,1] op_sel_hi:[1,0]
	v_mov_b32_e32 v62, v63
	v_pk_mul_f32 v[58:59], v[12:13], v[30:31]
	v_pk_fma_f32 v[12:13], v[12:13], v[30:31], v[62:63] op_sel:[0,1,0] op_sel_hi:[1,0,1] neg_lo:[0,0,1] neg_hi:[0,0,1]
	v_mov_b32_e32 v62, v15
	v_mov_b32_e32 v64, v65
	v_pk_mul_f32 v[60:61], v[60:61], v[30:31] op_sel:[0,1] op_sel_hi:[1,0]
	v_pk_mul_f32 v[30:31], v[14:15], v[36:37]
	v_pk_mul_f32 v[62:63], v[62:63], v[36:37] op_sel:[0,1] op_sel_hi:[1,0]
	v_pk_fma_f32 v[14:15], v[14:15], v[36:37], v[64:65] op_sel:[0,1,0] op_sel_hi:[1,0,1] neg_lo:[0,0,1] neg_hi:[0,0,1]
	v_mov_b32_e32 v36, v35
	v_pk_mul_f32 v[64:65], v[8:9], v[34:35] op_sel_hi:[1,0]
	s_mov_b32 s11, 0xbeae86e6
	v_pk_fma_f32 v[36:37], v[8:9], v[36:37], v[64:65] op_sel:[0,0,1] op_sel_hi:[1,1,0] neg_lo:[0,0,1] neg_hi:[0,0,1]
	v_pk_fma_f32 v[8:9], v[8:9], v[34:35], v[64:65] op_sel:[0,1,1] op_sel_hi:[1,1,0]
	v_pk_mul_f32 v[34:35], v[10:11], v[28:29] op_sel_hi:[1,0]
	v_mov_b32_e32 v8, v29
	v_mov_b32_e32 v37, v9
	v_pk_fma_f32 v[8:9], v[10:11], v[8:9], v[34:35] op_sel:[0,0,1] op_sel_hi:[1,1,0] neg_lo:[0,0,1] neg_hi:[0,0,1]
	v_pk_fma_f32 v[10:11], v[10:11], v[28:29], v[34:35] op_sel:[0,1,1] op_sel_hi:[1,1,0]
	v_pk_mul_f32 v[28:29], v[4:5], v[38:39] op_sel_hi:[1,0]
	v_mov_b32_e32 v10, v39
	v_mov_b32_e32 v9, v11
	v_pk_fma_f32 v[10:11], v[4:5], v[10:11], v[28:29] op_sel:[0,0,1] op_sel_hi:[1,1,0] neg_lo:[0,0,1] neg_hi:[0,0,1]
	v_pk_fma_f32 v[4:5], v[4:5], v[38:39], v[28:29] op_sel:[0,1,1] op_sel_hi:[1,1,0]
	s_waitcnt lgkmcnt(0)
	v_pk_mul_f32 v[28:29], v[6:7], v[2:3] op_sel_hi:[1,0]
	v_mov_b32_e32 v4, v3
	v_mov_b32_e32 v11, v5
	v_pk_fma_f32 v[4:5], v[6:7], v[4:5], v[28:29] op_sel:[0,0,1] op_sel_hi:[1,1,0] neg_lo:[0,0,1] neg_hi:[0,0,1]
	v_pk_fma_f32 v[2:3], v[6:7], v[2:3], v[28:29] op_sel:[0,1,1] op_sel_hi:[1,1,0]
	v_mov_b32_e32 v31, v36
	v_mov_b32_e32 v5, v3
	;; [unrolled: 1-line block ×5, first 2 shown]
	v_pk_add_f32 v[2:3], v[36:37], v[4:5]
	v_pk_add_f32 v[6:7], v[36:37], v[4:5] neg_lo:[0,1] neg_hi:[0,1]
	v_pk_add_f32 v[28:29], v[8:9], v[10:11]
	v_pk_add_f32 v[34:35], v[8:9], v[10:11] neg_lo:[0,1] neg_hi:[0,1]
	v_pk_add_f32 v[4:5], v[30:31], v[62:63]
	v_pk_add_f32 v[8:9], v[58:59], v[60:61]
	v_mov_b32_e32 v15, v4
	v_mov_b32_e32 v13, v8
	v_pk_add_f32 v[10:11], v[14:15], v[12:13] neg_lo:[0,1] neg_hi:[0,1]
	v_mov_b32_e32 v58, v29
	v_mov_b32_e32 v59, v12
	;; [unrolled: 1-line block ×4, first 2 shown]
	v_pk_add_f32 v[12:13], v[58:59], v[12:13]
	v_pk_add_f32 v[14:15], v[8:9], v[4:5]
	v_mov_b32_e32 v30, v10
	v_mov_b32_e32 v31, v7
	;; [unrolled: 1-line block ×6, first 2 shown]
	v_pk_add_f32 v[30:31], v[30:31], v[36:37] neg_lo:[0,1] neg_hi:[0,1]
	v_mov_b32_e32 v36, v6
	v_mov_b32_e32 v38, v10
	;; [unrolled: 1-line block ×3, first 2 shown]
	v_pk_add_f32 v[58:59], v[4:5], v[58:59] neg_lo:[0,1] neg_hi:[0,1]
	v_mov_b32_e32 v60, v3
	v_mov_b32_e32 v61, v13
	;; [unrolled: 1-line block ×3, first 2 shown]
	v_pk_add_f32 v[12:13], v[12:13], v[14:15]
	s_mov_b32 s17, 0x3f4a47b2
	v_mov_b32_e32 v0, s2
	v_mov_b32_e32 v1, s3
	v_pk_mul_f32 v[30:31], v[30:31], s[10:11]
	v_pk_add_f32 v[36:37], v[36:37], v[38:39] neg_lo:[0,1] neg_hi:[0,1]
	s_mov_b32 s2, s11
	s_mov_b32 s3, s10
	v_pk_add_f32 v[10:11], v[10:11], v[34:35]
	v_pk_add_f32 v[60:61], v[60:61], v[8:9] neg_lo:[0,1] neg_hi:[0,1]
	v_pk_add_f32 v[14:15], v[32:33], v[12:13]
	s_mov_b32 s14, 0x3f955555
	v_pk_mul_f32 v[32:33], v[58:59], s[16:17]
	s_mov_b32 s18, s17
	s_mov_b32 s19, s16
	v_pk_mul_f32 v[38:39], v[36:37], s[2:3]
	v_pk_add_f32 v[10:11], v[10:11], v[6:7]
	s_mov_b32 s0, 0xbee1c552
	v_pk_mul_f32 v[58:59], v[60:61], s[18:19]
	v_pk_fma_f32 v[12:13], v[12:13], s[14:15], v[14:15] op_sel_hi:[1,0,1] neg_lo:[1,0,0] neg_hi:[1,0,0]
	v_pk_fma_f32 v[60:61], v[60:61], s[18:19], v[32:33]
	v_pk_fma_f32 v[36:37], v[36:37], s[2:3], v[30:31]
	v_mov_b32_e32 v8, v29
	v_mov_b32_e32 v4, v3
	v_pk_add_f32 v[60:61], v[60:61], v[12:13]
	v_pk_fma_f32 v[36:37], v[10:11], s[0:1], v[36:37] op_sel_hi:[1,0,1]
	v_pk_add_f32 v[6:7], v[34:35], v[6:7] neg_lo:[0,1] neg_hi:[0,1]
	s_mov_b32 s8, 0xbf5ff5aa
	v_pk_add_f32 v[2:3], v[8:9], v[4:5] neg_lo:[0,1] neg_hi:[0,1]
	s_mov_b32 s12, 0x3f3bfb3b
	v_mov_b32_e32 v4, v58
	v_mov_b32_e32 v5, v33
	;; [unrolled: 1-line block ×6, first 2 shown]
	v_pk_add_f32 v[62:63], v[60:61], v[36:37]
	v_pk_add_f32 v[36:37], v[60:61], v[36:37] neg_lo:[0,1] neg_hi:[0,1]
	v_pk_fma_f32 v[4:5], v[2:3], s[12:13], v[4:5] op_sel_hi:[1,0,1] neg_lo:[1,0,1] neg_hi:[1,0,1]
	v_pk_fma_f32 v[8:9], v[6:7], s[8:9], v[8:9] op_sel_hi:[1,0,1] neg_lo:[1,0,1] neg_hi:[1,0,1]
	;; [unrolled: 1-line block ×4, first 2 shown]
	v_mov_b32_e32 v60, v62
	v_mov_b32_e32 v61, v37
	v_pk_add_f32 v[4:5], v[4:5], v[12:13]
	v_pk_fma_f32 v[8:9], v[10:11], s[0:1], v[8:9] op_sel_hi:[1,0,1]
	v_pk_add_f32 v[2:3], v[2:3], v[12:13]
	v_pk_fma_f32 v[6:7], v[10:11], s[0:1], v[6:7] op_sel_hi:[1,0,1]
	s_barrier
	ds_write2_b64 v43, v[14:15], v[60:61] offset1:2
	v_pk_add_f32 v[14:15], v[4:5], v[8:9]
	v_pk_add_f32 v[4:5], v[4:5], v[8:9] neg_lo:[0,1] neg_hi:[0,1]
	v_pk_add_f32 v[10:11], v[2:3], v[6:7] neg_lo:[0,1] neg_hi:[0,1]
	v_pk_add_f32 v[2:3], v[2:3], v[6:7]
	v_mov_b32_e32 v8, v14
	v_mov_b32_e32 v9, v5
	;; [unrolled: 1-line block ×7, first 2 shown]
	ds_write2_b64 v43, v[8:9], v[6:7] offset0:4 offset1:6
	ds_write2_b64 v43, v[2:3], v[4:5] offset0:8 offset1:10
	ds_write_b64 v43, v[36:37] offset:96
	s_waitcnt lgkmcnt(0)
	s_barrier
	ds_read2_b64 v[2:5], v45 offset0:28 offset1:42
	ds_read2_b64 v[6:9], v45 offset1:14
	ds_read2_b64 v[10:13], v45 offset0:56 offset1:70
	ds_read_b64 v[28:29], v45 offset:672
	v_mov_b32_e32 v32, v25
	v_mad_u64_u32 v[14:15], s[20:21], s6, v44, 0
	s_waitcnt lgkmcnt(3)
	v_pk_mul_f32 v[34:35], v[24:25], v[4:5] op_sel:[0,1] op_sel_hi:[1,0]
	s_waitcnt lgkmcnt(1)
	v_pk_mul_f32 v[36:37], v[26:27], v[10:11] op_sel:[0,1] op_sel_hi:[1,0]
	v_mov_b32_e32 v34, v35
	v_pk_mul_f32 v[30:31], v[24:25], v[4:5]
	v_pk_mul_f32 v[32:33], v[32:33], v[4:5] op_sel:[0,1] op_sel_hi:[1,0]
	v_pk_fma_f32 v[4:5], v[24:25], v[4:5], v[34:35] op_sel:[0,1,0] op_sel_hi:[1,0,1] neg_lo:[0,0,1] neg_hi:[0,0,1]
	v_mov_b32_e32 v34, v27
	v_mov_b32_e32 v36, v37
	v_pk_mul_f32 v[24:25], v[26:27], v[10:11]
	v_pk_mul_f32 v[34:35], v[34:35], v[10:11] op_sel:[0,1] op_sel_hi:[1,0]
	v_pk_fma_f32 v[10:11], v[26:27], v[10:11], v[36:37] op_sel:[0,1,0] op_sel_hi:[1,0,1] neg_lo:[0,0,1] neg_hi:[0,0,1]
	v_pk_mul_f32 v[36:37], v[20:21], v[8:9] op_sel_hi:[1,0]
	v_mov_b32_e32 v26, v9
	v_pk_fma_f32 v[8:9], v[20:21], v[8:9], v[36:37] op_sel:[0,1,1] op_sel_hi:[1,1,0]
	v_pk_fma_f32 v[26:27], v[20:21], v[26:27], v[36:37] op_sel:[0,0,1] op_sel_hi:[1,1,0] neg_lo:[0,0,1] neg_hi:[0,0,1]
	v_mov_b32_e32 v8, v3
	v_pk_mul_f32 v[20:21], v[22:23], v[2:3] op_sel_hi:[1,0]
	v_mov_b32_e32 v27, v9
	v_pk_fma_f32 v[8:9], v[22:23], v[8:9], v[20:21] op_sel:[0,0,1] op_sel_hi:[1,1,0] neg_lo:[0,0,1] neg_hi:[0,0,1]
	v_pk_fma_f32 v[2:3], v[22:23], v[2:3], v[20:21] op_sel:[0,1,1] op_sel_hi:[1,1,0]
	v_pk_mul_f32 v[20:21], v[16:17], v[12:13] op_sel_hi:[1,0]
	v_mov_b32_e32 v2, v13
	v_pk_fma_f32 v[12:13], v[16:17], v[12:13], v[20:21] op_sel:[0,1,1] op_sel_hi:[1,1,0]
	v_mov_b32_e32 v9, v3
	v_pk_fma_f32 v[2:3], v[16:17], v[2:3], v[20:21] op_sel:[0,0,1] op_sel_hi:[1,1,0] neg_lo:[0,0,1] neg_hi:[0,0,1]
	s_waitcnt lgkmcnt(0)
	v_mov_b32_e32 v12, v29
	v_pk_mul_f32 v[16:17], v[18:19], v[28:29] op_sel_hi:[1,0]
	v_mov_b32_e32 v3, v13
	v_pk_fma_f32 v[12:13], v[18:19], v[12:13], v[16:17] op_sel:[0,0,1] op_sel_hi:[1,1,0] neg_lo:[0,0,1] neg_hi:[0,0,1]
	v_pk_fma_f32 v[16:17], v[18:19], v[28:29], v[16:17] op_sel:[0,1,1] op_sel_hi:[1,1,0]
	v_mov_b32_e32 v25, v26
	v_mov_b32_e32 v13, v17
	;; [unrolled: 1-line block ×5, first 2 shown]
	v_pk_add_f32 v[16:17], v[26:27], v[12:13]
	v_pk_add_f32 v[18:19], v[26:27], v[12:13] neg_lo:[0,1] neg_hi:[0,1]
	v_pk_add_f32 v[20:21], v[8:9], v[2:3]
	v_pk_add_f32 v[22:23], v[8:9], v[2:3] neg_lo:[0,1] neg_hi:[0,1]
	v_pk_add_f32 v[12:13], v[24:25], v[34:35]
	v_pk_add_f32 v[2:3], v[30:31], v[32:33]
	v_mov_b32_e32 v11, v12
	v_mov_b32_e32 v5, v2
	v_pk_add_f32 v[8:9], v[10:11], v[4:5] neg_lo:[0,1] neg_hi:[0,1]
	v_mov_b32_e32 v30, v21
	v_mov_b32_e32 v31, v4
	;; [unrolled: 1-line block ×4, first 2 shown]
	v_pk_add_f32 v[4:5], v[30:31], v[4:5]
	v_pk_add_f32 v[10:11], v[2:3], v[12:13]
	v_mov_b32_e32 v24, v8
	v_mov_b32_e32 v25, v19
	;; [unrolled: 1-line block ×6, first 2 shown]
	v_pk_add_f32 v[24:25], v[24:25], v[26:27] neg_lo:[0,1] neg_hi:[0,1]
	v_mov_b32_e32 v26, v18
	v_mov_b32_e32 v28, v8
	v_mov_b32_e32 v29, v23
	v_pk_add_f32 v[30:31], v[12:13], v[30:31] neg_lo:[0,1] neg_hi:[0,1]
	v_mov_b32_e32 v32, v17
	v_mov_b32_e32 v33, v5
	;; [unrolled: 1-line block ×3, first 2 shown]
	v_pk_add_f32 v[4:5], v[4:5], v[10:11]
	v_pk_mul_f32 v[24:25], v[24:25], s[10:11]
	v_pk_add_f32 v[26:27], v[26:27], v[28:29] neg_lo:[0,1] neg_hi:[0,1]
	v_pk_add_f32 v[8:9], v[8:9], v[22:23]
	v_pk_add_f32 v[32:33], v[32:33], v[2:3] neg_lo:[0,1] neg_hi:[0,1]
	v_pk_add_f32 v[6:7], v[6:7], v[4:5]
	v_pk_mul_f32 v[10:11], v[30:31], s[16:17]
	v_pk_mul_f32 v[28:29], v[26:27], s[2:3]
	v_pk_add_f32 v[8:9], v[8:9], v[18:19]
	v_pk_mul_f32 v[30:31], v[32:33], s[18:19]
	v_pk_fma_f32 v[4:5], v[4:5], s[14:15], v[6:7] op_sel_hi:[1,0,1] neg_lo:[1,0,0] neg_hi:[1,0,0]
	v_pk_fma_f32 v[32:33], v[32:33], s[18:19], v[10:11]
	v_pk_fma_f32 v[26:27], v[26:27], s[2:3], v[24:25]
	v_pk_add_f32 v[32:33], v[32:33], v[4:5]
	v_pk_fma_f32 v[26:27], v[8:9], s[0:1], v[26:27] op_sel_hi:[1,0,1]
	v_mov_b32_e32 v2, v21
	v_pk_add_f32 v[34:35], v[32:33], v[26:27]
	v_pk_add_f32 v[26:27], v[32:33], v[26:27] neg_lo:[0,1] neg_hi:[0,1]
	v_mov_b32_e32 v32, v34
	v_mov_b32_e32 v33, v27
	;; [unrolled: 1-line block ×3, first 2 shown]
	ds_write2_b64 v45, v[6:7], v[32:33] offset1:14
	v_pk_add_f32 v[6:7], v[22:23], v[18:19] neg_lo:[0,1] neg_hi:[0,1]
	v_pk_add_f32 v[2:3], v[2:3], v[12:13] neg_lo:[0,1] neg_hi:[0,1]
	v_mov_b32_e32 v12, v30
	v_mov_b32_e32 v13, v11
	;; [unrolled: 1-line block ×6, first 2 shown]
	v_pk_fma_f32 v[12:13], v[2:3], s[12:13], v[12:13] op_sel_hi:[1,0,1] neg_lo:[1,0,1] neg_hi:[1,0,1]
	v_pk_fma_f32 v[16:17], v[6:7], s[8:9], v[16:17] op_sel_hi:[1,0,1] neg_lo:[1,0,1] neg_hi:[1,0,1]
	;; [unrolled: 1-line block ×4, first 2 shown]
	v_pk_add_f32 v[12:13], v[12:13], v[4:5]
	v_pk_fma_f32 v[16:17], v[8:9], s[0:1], v[16:17] op_sel_hi:[1,0,1]
	v_pk_add_f32 v[2:3], v[2:3], v[4:5]
	v_pk_fma_f32 v[4:5], v[8:9], s[0:1], v[6:7] op_sel_hi:[1,0,1]
	v_pk_add_f32 v[18:19], v[12:13], v[16:17]
	v_pk_add_f32 v[12:13], v[12:13], v[16:17] neg_lo:[0,1] neg_hi:[0,1]
	v_pk_add_f32 v[6:7], v[2:3], v[4:5] neg_lo:[0,1] neg_hi:[0,1]
	v_pk_add_f32 v[2:3], v[2:3], v[4:5]
	v_mov_b32_e32 v16, v18
	v_mov_b32_e32 v17, v13
	;; [unrolled: 1-line block ×7, first 2 shown]
	ds_write2_b64 v45, v[16:17], v[4:5] offset0:28 offset1:42
	ds_write2_b64 v45, v[2:3], v[12:13] offset0:56 offset1:70
	ds_write_b64 v45, v[26:27] offset:672
	s_waitcnt lgkmcnt(0)
	s_barrier
	ds_read2_b64 v[2:5], v45 offset1:14
	v_mov_b32_e32 v6, v15
	v_mad_u64_u32 v[6:7], s[0:1], s7, v44, v[6:7]
	v_mov_b32_e32 v15, v6
	s_waitcnt lgkmcnt(0)
	v_mul_f32_e32 v6, v57, v3
	v_fmac_f32_e32 v6, v56, v2
	v_mul_f32_e32 v2, v57, v2
	s_mov_b32 s0, 0xa72f0539
	v_fma_f32 v2, v56, v3, -v2
	s_mov_b32 s1, 0x3f84e5e0
	v_cvt_f64_f32_e32 v[2:3], v2
	v_cvt_f64_f32_e32 v[6:7], v6
	v_mul_f64 v[2:3], v[2:3], s[0:1]
	v_mul_f64 v[6:7], v[6:7], s[0:1]
	v_cvt_f32_f64_e32 v11, v[2:3]
	v_mad_u64_u32 v[2:3], s[2:3], s4, v42, 0
	v_cvt_f32_f64_e32 v10, v[6:7]
	v_mov_b32_e32 v6, v3
	v_mad_u64_u32 v[12:13], s[2:3], s5, v42, v[6:7]
	ds_read2_b64 v[6:9], v45 offset0:28 offset1:49
	v_mov_b32_e32 v3, v12
	v_lshl_add_u64 v[0:1], v[14:15], 3, v[0:1]
	v_lshl_add_u64 v[0:1], v[2:3], 3, v[0:1]
	s_mul_i32 s2, s5, 49
	s_waitcnt lgkmcnt(0)
	v_mul_f32_e32 v2, v55, v9
	v_fmac_f32_e32 v2, v54, v8
	v_cvt_f64_f32_e32 v[2:3], v2
	v_mul_f64 v[2:3], v[2:3], s[0:1]
	v_cvt_f32_f64_e32 v2, v[2:3]
	v_mul_f32_e32 v3, v55, v8
	v_fma_f32 v3, v54, v9, -v3
	s_mul_hi_u32 s3, s4, 49
	v_cvt_f64_f32_e32 v[8:9], v3
	s_add_i32 s3, s3, s2
	s_mul_i32 s2, s4, 49
	v_mul_f64 v[8:9], v[8:9], s[0:1]
	s_lshl_b64 s[6:7], s[2:3], 3
	global_store_dwordx2 v[0:1], v[10:11], off
	v_cvt_f32_f64_e32 v3, v[8:9]
	v_lshl_add_u64 v[8:9], v[0:1], 0, s[6:7]
	v_mul_f32_e32 v0, v53, v5
	v_fmac_f32_e32 v0, v52, v4
	v_cvt_f64_f32_e32 v[0:1], v0
	v_mul_f64 v[0:1], v[0:1], s[0:1]
	v_cvt_f32_f64_e32 v10, v[0:1]
	v_mul_f32_e32 v0, v53, v4
	v_fma_f32 v0, v52, v5, -v0
	v_cvt_f64_f32_e32 v[0:1], v0
	v_mul_f64 v[0:1], v[0:1], s[0:1]
	global_store_dwordx2 v[8:9], v[2:3], off
	v_cvt_f32_f64_e32 v11, v[0:1]
	ds_read2_b64 v[0:3], v45 offset0:63 offset1:77
	s_mul_hi_u32 s8, s4, 0xffffffdd
	s_mulk_i32 s5, 0xffdd
	s_sub_i32 s8, s8, s4
	s_add_i32 s5, s8, s5
	s_mulk_i32 s4, 0xffdd
	s_lshl_b64 s[8:9], s[4:5], 3
	v_lshl_add_u64 v[4:5], v[8:9], 0, s[8:9]
	s_waitcnt lgkmcnt(0)
	v_mul_f32_e32 v8, v51, v1
	v_fmac_f32_e32 v8, v50, v0
	v_mul_f32_e32 v0, v51, v0
	v_fma_f32 v0, v50, v1, -v0
	v_cvt_f64_f32_e32 v[8:9], v8
	v_cvt_f64_f32_e32 v[0:1], v0
	v_mul_f64 v[8:9], v[8:9], s[0:1]
	v_mul_f64 v[0:1], v[0:1], s[0:1]
	global_store_dwordx2 v[4:5], v[10:11], off
	v_cvt_f32_f64_e32 v8, v[8:9]
	v_cvt_f32_f64_e32 v9, v[0:1]
	v_lshl_add_u64 v[0:1], v[4:5], 0, s[6:7]
	v_mul_f32_e32 v4, v49, v7
	v_fmac_f32_e32 v4, v48, v6
	v_cvt_f64_f32_e32 v[4:5], v4
	v_mul_f64 v[4:5], v[4:5], s[0:1]
	v_cvt_f32_f64_e32 v4, v[4:5]
	v_mul_f32_e32 v5, v49, v6
	v_fma_f32 v5, v48, v7, -v5
	v_cvt_f64_f32_e32 v[6:7], v5
	v_mul_f64 v[6:7], v[6:7], s[0:1]
	global_store_dwordx2 v[0:1], v[8:9], off
	v_cvt_f32_f64_e32 v5, v[6:7]
	v_lshl_add_u64 v[0:1], v[0:1], 0, s[8:9]
	global_store_dwordx2 v[0:1], v[4:5], off
	v_mul_f32_e32 v4, v47, v3
	v_fmac_f32_e32 v4, v46, v2
	v_mul_f32_e32 v2, v47, v2
	v_fma_f32 v2, v46, v3, -v2
	v_cvt_f64_f32_e32 v[4:5], v4
	v_cvt_f64_f32_e32 v[2:3], v2
	v_mul_f64 v[4:5], v[4:5], s[0:1]
	v_mul_f64 v[2:3], v[2:3], s[0:1]
	v_cvt_f32_f64_e32 v4, v[4:5]
	v_cvt_f32_f64_e32 v5, v[2:3]
	v_lshl_add_u64 v[0:1], v[0:1], 0, s[6:7]
	global_store_dwordx2 v[0:1], v[4:5], off
	s_and_b64 exec, exec, vcc
	s_cbranch_execz .LBB0_15
; %bb.14:
	global_load_dwordx2 v[6:7], v[40:41], off offset:336
	global_load_dwordx2 v[8:9], v[40:41], off offset:728
	ds_read2_b64 v[2:5], v45 offset0:42 offset1:91
	v_lshl_add_u64 v[0:1], s[4:5], 3, v[0:1]
	v_lshl_add_u64 v[10:11], s[2:3], 3, v[0:1]
	s_waitcnt vmcnt(1) lgkmcnt(0)
	v_mul_f32_e32 v12, v3, v7
	v_mul_f32_e32 v7, v2, v7
	s_waitcnt vmcnt(0)
	v_mul_f32_e32 v13, v5, v9
	v_mul_f32_e32 v9, v4, v9
	v_fmac_f32_e32 v12, v2, v6
	v_fma_f32 v6, v6, v3, -v7
	v_fmac_f32_e32 v13, v4, v8
	v_fma_f32 v8, v8, v5, -v9
	v_cvt_f64_f32_e32 v[2:3], v12
	v_cvt_f64_f32_e32 v[4:5], v6
	;; [unrolled: 1-line block ×4, first 2 shown]
	v_mul_f64 v[2:3], v[2:3], s[0:1]
	v_mul_f64 v[4:5], v[4:5], s[0:1]
	;; [unrolled: 1-line block ×4, first 2 shown]
	v_cvt_f32_f64_e32 v2, v[2:3]
	v_cvt_f32_f64_e32 v3, v[4:5]
	;; [unrolled: 1-line block ×4, first 2 shown]
	global_store_dwordx2 v[0:1], v[2:3], off
	global_store_dwordx2 v[10:11], v[4:5], off
.LBB0_15:
	s_endpgm
	.section	.rodata,"a",@progbits
	.p2align	6, 0x0
	.amdhsa_kernel bluestein_single_fwd_len98_dim1_sp_op_CI_CI
		.amdhsa_group_segment_fixed_size 14112
		.amdhsa_private_segment_fixed_size 0
		.amdhsa_kernarg_size 104
		.amdhsa_user_sgpr_count 2
		.amdhsa_user_sgpr_dispatch_ptr 0
		.amdhsa_user_sgpr_queue_ptr 0
		.amdhsa_user_sgpr_kernarg_segment_ptr 1
		.amdhsa_user_sgpr_dispatch_id 0
		.amdhsa_user_sgpr_kernarg_preload_length 0
		.amdhsa_user_sgpr_kernarg_preload_offset 0
		.amdhsa_user_sgpr_private_segment_size 0
		.amdhsa_uses_dynamic_stack 0
		.amdhsa_enable_private_segment 0
		.amdhsa_system_sgpr_workgroup_id_x 1
		.amdhsa_system_sgpr_workgroup_id_y 0
		.amdhsa_system_sgpr_workgroup_id_z 0
		.amdhsa_system_sgpr_workgroup_info 0
		.amdhsa_system_vgpr_workitem_id 0
		.amdhsa_next_free_vgpr 80
		.amdhsa_next_free_sgpr 26
		.amdhsa_accum_offset 80
		.amdhsa_reserve_vcc 1
		.amdhsa_float_round_mode_32 0
		.amdhsa_float_round_mode_16_64 0
		.amdhsa_float_denorm_mode_32 3
		.amdhsa_float_denorm_mode_16_64 3
		.amdhsa_dx10_clamp 1
		.amdhsa_ieee_mode 1
		.amdhsa_fp16_overflow 0
		.amdhsa_tg_split 0
		.amdhsa_exception_fp_ieee_invalid_op 0
		.amdhsa_exception_fp_denorm_src 0
		.amdhsa_exception_fp_ieee_div_zero 0
		.amdhsa_exception_fp_ieee_overflow 0
		.amdhsa_exception_fp_ieee_underflow 0
		.amdhsa_exception_fp_ieee_inexact 0
		.amdhsa_exception_int_div_zero 0
	.end_amdhsa_kernel
	.text
.Lfunc_end0:
	.size	bluestein_single_fwd_len98_dim1_sp_op_CI_CI, .Lfunc_end0-bluestein_single_fwd_len98_dim1_sp_op_CI_CI
                                        ; -- End function
	.section	.AMDGPU.csdata,"",@progbits
; Kernel info:
; codeLenInByte = 5712
; NumSgprs: 32
; NumVgprs: 80
; NumAgprs: 0
; TotalNumVgprs: 80
; ScratchSize: 0
; MemoryBound: 0
; FloatMode: 240
; IeeeMode: 1
; LDSByteSize: 14112 bytes/workgroup (compile time only)
; SGPRBlocks: 3
; VGPRBlocks: 9
; NumSGPRsForWavesPerEU: 32
; NumVGPRsForWavesPerEU: 80
; AccumOffset: 80
; Occupancy: 6
; WaveLimiterHint : 1
; COMPUTE_PGM_RSRC2:SCRATCH_EN: 0
; COMPUTE_PGM_RSRC2:USER_SGPR: 2
; COMPUTE_PGM_RSRC2:TRAP_HANDLER: 0
; COMPUTE_PGM_RSRC2:TGID_X_EN: 1
; COMPUTE_PGM_RSRC2:TGID_Y_EN: 0
; COMPUTE_PGM_RSRC2:TGID_Z_EN: 0
; COMPUTE_PGM_RSRC2:TIDIG_COMP_CNT: 0
; COMPUTE_PGM_RSRC3_GFX90A:ACCUM_OFFSET: 19
; COMPUTE_PGM_RSRC3_GFX90A:TG_SPLIT: 0
	.text
	.p2alignl 6, 3212836864
	.fill 256, 4, 3212836864
	.type	__hip_cuid_30fab93f715c6b71,@object ; @__hip_cuid_30fab93f715c6b71
	.section	.bss,"aw",@nobits
	.globl	__hip_cuid_30fab93f715c6b71
__hip_cuid_30fab93f715c6b71:
	.byte	0                               ; 0x0
	.size	__hip_cuid_30fab93f715c6b71, 1

	.ident	"AMD clang version 19.0.0git (https://github.com/RadeonOpenCompute/llvm-project roc-6.4.0 25133 c7fe45cf4b819c5991fe208aaa96edf142730f1d)"
	.section	".note.GNU-stack","",@progbits
	.addrsig
	.addrsig_sym __hip_cuid_30fab93f715c6b71
	.amdgpu_metadata
---
amdhsa.kernels:
  - .agpr_count:     0
    .args:
      - .actual_access:  read_only
        .address_space:  global
        .offset:         0
        .size:           8
        .value_kind:     global_buffer
      - .actual_access:  read_only
        .address_space:  global
        .offset:         8
        .size:           8
        .value_kind:     global_buffer
      - .actual_access:  read_only
        .address_space:  global
        .offset:         16
        .size:           8
        .value_kind:     global_buffer
      - .actual_access:  read_only
        .address_space:  global
        .offset:         24
        .size:           8
        .value_kind:     global_buffer
      - .actual_access:  read_only
        .address_space:  global
        .offset:         32
        .size:           8
        .value_kind:     global_buffer
      - .offset:         40
        .size:           8
        .value_kind:     by_value
      - .address_space:  global
        .offset:         48
        .size:           8
        .value_kind:     global_buffer
      - .address_space:  global
        .offset:         56
        .size:           8
        .value_kind:     global_buffer
      - .address_space:  global
        .offset:         64
        .size:           8
        .value_kind:     global_buffer
      - .address_space:  global
        .offset:         72
        .size:           8
        .value_kind:     global_buffer
      - .offset:         80
        .size:           4
        .value_kind:     by_value
      - .address_space:  global
        .offset:         88
        .size:           8
        .value_kind:     global_buffer
      - .address_space:  global
        .offset:         96
        .size:           8
        .value_kind:     global_buffer
    .group_segment_fixed_size: 14112
    .kernarg_segment_align: 8
    .kernarg_segment_size: 104
    .language:       OpenCL C
    .language_version:
      - 2
      - 0
    .max_flat_workgroup_size: 252
    .name:           bluestein_single_fwd_len98_dim1_sp_op_CI_CI
    .private_segment_fixed_size: 0
    .sgpr_count:     32
    .sgpr_spill_count: 0
    .symbol:         bluestein_single_fwd_len98_dim1_sp_op_CI_CI.kd
    .uniform_work_group_size: 1
    .uses_dynamic_stack: false
    .vgpr_count:     80
    .vgpr_spill_count: 0
    .wavefront_size: 64
amdhsa.target:   amdgcn-amd-amdhsa--gfx950
amdhsa.version:
  - 1
  - 2
...

	.end_amdgpu_metadata
